;; amdgpu-corpus repo=ROCm/rocFFT kind=compiled arch=gfx950 opt=O3
	.text
	.amdgcn_target "amdgcn-amd-amdhsa--gfx950"
	.amdhsa_code_object_version 6
	.protected	fft_rtc_back_len17_factors_17_wgs_120_tpt_1_half_op_CI_CI_sbrc_erc_z_xy_aligned ; -- Begin function fft_rtc_back_len17_factors_17_wgs_120_tpt_1_half_op_CI_CI_sbrc_erc_z_xy_aligned
	.globl	fft_rtc_back_len17_factors_17_wgs_120_tpt_1_half_op_CI_CI_sbrc_erc_z_xy_aligned
	.p2align	8
	.type	fft_rtc_back_len17_factors_17_wgs_120_tpt_1_half_op_CI_CI_sbrc_erc_z_xy_aligned,@function
fft_rtc_back_len17_factors_17_wgs_120_tpt_1_half_op_CI_CI_sbrc_erc_z_xy_aligned: ; @fft_rtc_back_len17_factors_17_wgs_120_tpt_1_half_op_CI_CI_sbrc_erc_z_xy_aligned
; %bb.0:
	s_load_dwordx8 s[4:11], s[0:1], 0x8
	s_mov_b32 s29, 0x88888889
	s_mov_b32 s33, 0xb1e1
	;; [unrolled: 1-line block ×4, first 2 shown]
	s_waitcnt lgkmcnt(0)
	s_load_dwordx4 s[12:15], s[6:7], 0x8
	s_load_dwordx4 s[16:19], s[8:9], 0x0
	s_waitcnt lgkmcnt(0)
	s_load_dword s19, s[8:9], 0x10
	s_movk_i32 s31, 0x3836
	s_mov_b32 s34, 0xbbdd
	s_add_i32 s3, s12, -1
	s_mul_hi_u32 s3, s3, 0x88888889
	s_lshr_b32 s3, s3, 6
	s_add_i32 s6, s3, 1
	s_mul_i32 s7, s6, s14
	v_cvt_f32_u32_e32 v2, s7
	v_cvt_f32_u32_e32 v1, s6
	s_load_dwordx4 s[12:15], s[10:11], 0x0
	s_waitcnt lgkmcnt(0)
	s_sub_i32 s15, 0, s7
	v_rcp_iflag_f32_e32 v2, v2
	v_rcp_iflag_f32_e32 v1, v1
	s_movk_i32 s36, 0x31e1
	v_mul_f32_e32 v2, 0x4f7ffffe, v2
	v_cvt_u32_f32_e32 v2, v2
	v_mul_f32_e32 v1, 0x4f7ffffe, v1
	v_cvt_u32_f32_e32 v1, v1
	v_readfirstlane_b32 s20, v2
	s_mul_i32 s15, s15, s20
	s_mul_hi_u32 s15, s20, s15
	s_add_i32 s20, s20, s15
	s_mul_hi_u32 s15, s2, s20
	s_mul_i32 s20, s15, s7
	s_sub_i32 s20, s2, s20
	s_add_i32 s22, s15, 1
	s_sub_i32 s23, s20, s7
	s_cmp_ge_u32 s20, s7
	s_cselect_b32 s15, s22, s15
	s_cselect_b32 s20, s23, s20
	s_add_i32 s22, s15, 1
	s_cmp_ge_u32 s20, s7
	v_readfirstlane_b32 s21, v1
	s_cselect_b32 s20, s22, s15
	s_not_b32 s3, s3
	s_mul_i32 s3, s3, s21
	s_mul_i32 s7, s20, s7
	s_mul_hi_u32 s3, s21, s3
	s_sub_i32 s7, s2, s7
	s_add_i32 s21, s21, s3
	s_mul_hi_u32 s3, s7, s21
	s_mul_i32 s15, s3, s6
	s_sub_i32 s7, s7, s15
	s_add_i32 s22, s3, 1
	s_sub_i32 s15, s7, s6
	s_cmp_ge_u32 s7, s6
	s_cselect_b32 s3, s22, s3
	s_cselect_b32 s7, s15, s7
	s_add_i32 s15, s3, 1
	s_cmp_ge_u32 s7, s6
	s_cselect_b32 s28, s15, s3
	s_mul_hi_u32 s3, s2, s21
	s_mul_i32 s3, s3, s6
	s_sub_i32 s2, s2, s3
	s_sub_i32 s3, s2, s6
	s_cmp_ge_u32 s2, s6
	s_cselect_b32 s2, s3, s2
	s_sub_i32 s3, s2, s6
	s_cmp_ge_u32 s2, s6
	s_cselect_b32 s2, s3, s2
	s_mul_i32 s21, s2, 0x78
	s_mul_i32 s3, s28, s19
	;; [unrolled: 1-line block ×3, first 2 shown]
	s_add_i32 s22, s2, s3
	s_mul_i32 s2, s13, s21
	s_mul_hi_u32 s3, s12, s21
	s_add_i32 s3, s3, s2
	s_lshl_b64 s[24:25], s[4:5], 3
	s_add_u32 s8, s8, s24
	s_addc_u32 s9, s9, s25
	s_load_dwordx2 s[26:27], s[8:9], 0x0
	s_load_dwordx4 s[4:7], s[0:1], 0x58
	v_add_u32_e32 v1, s21, v0
	v_mul_hi_u32 v2, v1, s29
	s_movk_i32 s19, 0x78
	s_waitcnt lgkmcnt(0)
	s_mul_i32 s0, s27, s20
	s_mul_hi_u32 s1, s26, s20
	v_lshrrev_b32_e32 v2, 6, v2
	s_add_i32 s27, s1, s0
	v_mul_lo_u32 v2, v2, s19
	s_add_u32 s0, s10, s24
	v_sub_u32_e32 v1, v1, v2
	v_mul_u32_u24_e32 v2, 0xf10, v0
	s_addc_u32 s1, s11, s25
	s_load_dword s15, s[10:11], 0x10
	s_load_dwordx2 s[8:9], s[0:1], 0x0
	v_lshrrev_b32_e32 v6, 16, v2
	v_mul_lo_u16_e32 v2, 17, v6
	v_sub_u16_e32 v7, v0, v2
	v_mad_u64_u32 v[4:5], s[24:25], s16, v7, 0
	v_mov_b32_e32 v2, v5
	s_mul_i32 s26, s26, s20
	s_waitcnt lgkmcnt(0)
	s_mul_i32 s9, s9, s20
	s_mul_hi_u32 s10, s8, s20
	v_mad_u64_u32 v[2:3], s[24:25], s17, v7, v[2:3]
	s_add_i32 s9, s10, s9
	s_lshl_b64 s[24:25], s[26:27], 2
	s_mov_b32 s23, 0
	s_add_u32 s10, s4, s24
	s_mul_i32 s0, s28, s14
	s_addc_u32 s14, s5, s25
	s_lshl_b64 s[4:5], s[22:23], 2
	s_add_u32 s4, s10, s4
	v_mov_b32_e32 v5, v2
	s_addc_u32 s5, s14, s5
	v_mul_lo_u32 v2, s18, v6
	v_mov_b32_e32 v3, 0
	v_lshl_add_u64 v[4:5], v[4:5], 2, s[4:5]
	v_lshl_add_u64 v[4:5], v[2:3], 2, v[4:5]
	v_mul_u32_u24_e32 v2, 0x48, v6
	v_lshlrev_b32_e32 v6, 2, v7
	v_add3_u32 v22, 0, v2, v6
	v_add_u16_e32 v2, 0x78, v0
	v_mul_u32_u24_e32 v6, 0xf10, v2
	v_lshrrev_b32_e32 v23, 16, v6
	v_mul_lo_u16_e32 v6, 17, v23
	v_sub_u16_e32 v24, v2, v6
	s_mov_b32 s1, s23
	v_mad_u64_u32 v[6:7], s[22:23], s16, v24, 0
	v_mov_b32_e32 v2, v7
	v_mad_u64_u32 v[8:9], s[22:23], s17, v24, v[2:3]
	v_mov_b32_e32 v7, v8
	s_mov_b32 s14, 0x16800f0
	v_mul_lo_u32 v2, s18, v23
	v_lshl_add_u64 v[6:7], v[6:7], 2, s[4:5]
	v_pk_add_u16 v12, v0, s14 op_sel_hi:[0,1]
	v_lshl_add_u64 v[6:7], v[2:3], 2, v[6:7]
	v_and_b32_e32 v2, 0x1ff, v12
	v_mul_u32_u24_e32 v25, 0xf10, v2
	v_lshrrev_b32_e32 v13, 16, v25
	v_mul_lo_u16_e32 v2, 17, v13
	v_sub_u16_e32 v26, v12, v2
	v_mad_u64_u32 v[8:9], s[22:23], s16, v26, 0
	v_mov_b32_e32 v2, v9
	s_movk_i32 s11, 0xf10
	v_mad_u64_u32 v[10:11], s[22:23], s17, v26, v[2:3]
	v_mov_b32_e32 v9, v10
	v_mul_u32_u24_sdwa v27, v12, s11 dst_sel:DWORD dst_unused:UNUSED_PAD src0_sel:WORD_1 src1_sel:DWORD
	v_mul_lo_u32 v2, s18, v13
	v_lshl_add_u64 v[8:9], v[8:9], 2, s[4:5]
	v_lshrrev_b32_e32 v14, 16, v27
	v_lshl_add_u64 v[8:9], v[2:3], 2, v[8:9]
	v_mul_lo_u16_e32 v2, 17, v14
	v_sub_u16_sdwa v28, v12, v2 dst_sel:DWORD dst_unused:UNUSED_PAD src0_sel:WORD_1 src1_sel:DWORD
	v_mad_u64_u32 v[10:11], s[22:23], s16, v28, 0
	v_mov_b32_e32 v2, v11
	v_mad_u64_u32 v[12:13], s[22:23], s17, v28, v[2:3]
	v_mov_b32_e32 v11, v12
	s_mov_b32 s14, 0x25801e0
	v_mul_lo_u32 v2, s18, v14
	v_lshl_add_u64 v[10:11], v[10:11], 2, s[4:5]
	v_pk_add_u16 v16, v0, s14 op_sel_hi:[0,1]
	v_lshl_add_u64 v[10:11], v[2:3], 2, v[10:11]
	v_and_b32_e32 v2, 0x3ff, v16
	v_mul_u32_u24_e32 v29, 0xf10, v2
	v_lshrrev_b32_e32 v17, 16, v29
	v_mul_lo_u16_e32 v2, 17, v17
	v_sub_u16_e32 v30, v16, v2
	v_mad_u64_u32 v[12:13], s[22:23], s16, v30, 0
	v_mov_b32_e32 v2, v13
	v_mad_u64_u32 v[14:15], s[22:23], s17, v30, v[2:3]
	v_mov_b32_e32 v13, v14
	v_mul_u32_u24_sdwa v31, v16, s11 dst_sel:DWORD dst_unused:UNUSED_PAD src0_sel:WORD_1 src1_sel:DWORD
	v_mul_lo_u32 v2, s18, v17
	v_lshl_add_u64 v[12:13], v[12:13], 2, s[4:5]
	v_lshrrev_b32_e32 v18, 16, v31
	v_lshl_add_u64 v[12:13], v[2:3], 2, v[12:13]
	v_mul_lo_u16_e32 v2, 17, v18
	v_sub_u16_sdwa v32, v16, v2 dst_sel:DWORD dst_unused:UNUSED_PAD src0_sel:WORD_1 src1_sel:DWORD
	v_mad_u64_u32 v[14:15], s[22:23], s16, v32, 0
	v_mov_b32_e32 v2, v15
	v_mad_u64_u32 v[16:17], s[22:23], s17, v32, v[2:3]
	v_mov_b32_e32 v15, v16
	s_mov_b32 s14, 0x34802d0
	v_mul_lo_u32 v2, s18, v18
	v_lshl_add_u64 v[14:15], v[14:15], 2, s[4:5]
	v_pk_add_u16 v20, v0, s14 op_sel_hi:[0,1]
	v_lshl_add_u64 v[14:15], v[2:3], 2, v[14:15]
	v_and_b32_e32 v2, 0x3ff, v20
	v_mul_u32_u24_e32 v33, 0xf10, v2
	v_lshrrev_b32_e32 v21, 16, v33
	v_mul_lo_u16_e32 v2, 17, v21
	v_sub_u16_e32 v34, v20, v2
	v_mad_u64_u32 v[16:17], s[22:23], s16, v34, 0
	v_mov_b32_e32 v2, v17
	v_mad_u64_u32 v[18:19], s[22:23], s17, v34, v[2:3]
	v_mov_b32_e32 v17, v18
	v_mul_u32_u24_sdwa v35, v20, s11 dst_sel:DWORD dst_unused:UNUSED_PAD src0_sel:WORD_1 src1_sel:DWORD
	v_mul_lo_u32 v2, s18, v21
	v_lshl_add_u64 v[16:17], v[16:17], 2, s[4:5]
	v_lshrrev_b32_e32 v36, 16, v35
	v_lshl_add_u64 v[16:17], v[2:3], 2, v[16:17]
	v_mul_lo_u16_e32 v2, 17, v36
	v_sub_u16_sdwa v37, v20, v2 dst_sel:DWORD dst_unused:UNUSED_PAD src0_sel:WORD_1 src1_sel:DWORD
	v_mad_u64_u32 v[18:19], s[22:23], s16, v37, 0
	v_mov_b32_e32 v2, v19
	v_mad_u64_u32 v[20:21], s[22:23], s17, v37, v[2:3]
	v_mov_b32_e32 v19, v20
	v_mul_lo_u32 v2, s18, v36
	v_lshl_add_u64 v[18:19], v[18:19], 2, s[4:5]
	s_mov_b32 s14, 0x43803c0
	v_lshl_add_u64 v[18:19], v[2:3], 2, v[18:19]
	global_load_dword v20, v[4:5], off
	global_load_dword v21, v[6:7], off
	;; [unrolled: 1-line block ×8, first 2 shown]
	v_pk_add_u16 v8, v0, s14 op_sel_hi:[0,1]
	v_and_b32_e32 v2, 0x7ff, v8
	v_mul_u32_u24_e32 v43, 0xf10, v2
	v_lshrrev_b32_e32 v9, 16, v43
	v_mul_lo_u16_e32 v2, 17, v9
	v_sub_u16_e32 v44, v8, v2
	v_mad_u64_u32 v[4:5], s[22:23], s16, v44, 0
	v_mov_b32_e32 v2, v5
	v_mad_u64_u32 v[6:7], s[22:23], s17, v44, v[2:3]
	v_mov_b32_e32 v5, v6
	v_mul_u32_u24_sdwa v45, v8, s11 dst_sel:DWORD dst_unused:UNUSED_PAD src0_sel:WORD_1 src1_sel:DWORD
	v_mul_lo_u32 v2, s18, v9
	v_lshl_add_u64 v[4:5], v[4:5], 2, s[4:5]
	v_lshrrev_b32_e32 v10, 16, v45
	v_lshl_add_u64 v[4:5], v[2:3], 2, v[4:5]
	v_mul_lo_u16_e32 v2, 17, v10
	v_sub_u16_sdwa v46, v8, v2 dst_sel:DWORD dst_unused:UNUSED_PAD src0_sel:WORD_1 src1_sel:DWORD
	v_mad_u64_u32 v[6:7], s[22:23], s16, v46, 0
	v_mov_b32_e32 v2, v7
	v_mad_u64_u32 v[8:9], s[22:23], s17, v46, v[2:3]
	v_mov_b32_e32 v7, v8
	s_mov_b32 s14, 0x52804b0
	v_mul_lo_u32 v2, s18, v10
	v_lshl_add_u64 v[6:7], v[6:7], 2, s[4:5]
	v_pk_add_u16 v12, v0, s14 op_sel_hi:[0,1]
	v_lshl_add_u64 v[6:7], v[2:3], 2, v[6:7]
	v_and_b32_e32 v2, 0x5ff, v12
	v_mul_u32_u24_e32 v47, 0xf10, v2
	v_lshrrev_b32_e32 v13, 16, v47
	v_mul_lo_u16_e32 v2, 17, v13
	v_sub_u16_e32 v48, v12, v2
	v_mad_u64_u32 v[8:9], s[22:23], s16, v48, 0
	v_mov_b32_e32 v2, v9
	v_mad_u64_u32 v[10:11], s[22:23], s17, v48, v[2:3]
	v_mov_b32_e32 v9, v10
	v_mul_u32_u24_sdwa v49, v12, s11 dst_sel:DWORD dst_unused:UNUSED_PAD src0_sel:WORD_1 src1_sel:DWORD
	v_mul_lo_u32 v2, s18, v13
	v_lshl_add_u64 v[8:9], v[8:9], 2, s[4:5]
	v_lshrrev_b32_e32 v14, 16, v49
	v_lshl_add_u64 v[8:9], v[2:3], 2, v[8:9]
	v_mul_lo_u16_e32 v2, 17, v14
	v_sub_u16_sdwa v50, v12, v2 dst_sel:DWORD dst_unused:UNUSED_PAD src0_sel:WORD_1 src1_sel:DWORD
	v_mad_u64_u32 v[10:11], s[22:23], s16, v50, 0
	v_mov_b32_e32 v2, v11
	v_mad_u64_u32 v[12:13], s[22:23], s17, v50, v[2:3]
	v_mov_b32_e32 v11, v12
	s_mov_b32 s14, 0x61805a0
	v_mul_lo_u32 v2, s18, v14
	v_lshl_add_u64 v[10:11], v[10:11], 2, s[4:5]
	v_pk_add_u16 v16, v0, s14 op_sel_hi:[0,1]
	v_lshl_add_u64 v[10:11], v[2:3], 2, v[10:11]
	v_and_b32_e32 v2, 0x7ff, v16
	v_mul_u32_u24_e32 v51, 0xf10, v2
	v_lshrrev_b32_e32 v17, 16, v51
	v_mul_lo_u16_e32 v2, 17, v17
	v_sub_u16_e32 v52, v16, v2
	v_mad_u64_u32 v[12:13], s[22:23], s16, v52, 0
	v_mov_b32_e32 v2, v13
	v_mad_u64_u32 v[14:15], s[22:23], s17, v52, v[2:3]
	v_mov_b32_e32 v13, v14
	v_mul_u32_u24_sdwa v53, v16, s11 dst_sel:DWORD dst_unused:UNUSED_PAD src0_sel:WORD_1 src1_sel:DWORD
	v_mul_lo_u32 v2, s18, v17
	v_lshl_add_u64 v[12:13], v[12:13], 2, s[4:5]
	v_lshrrev_b32_e32 v18, 16, v53
	v_lshl_add_u64 v[12:13], v[2:3], 2, v[12:13]
	v_mul_lo_u16_e32 v2, 17, v18
	v_sub_u16_sdwa v54, v16, v2 dst_sel:DWORD dst_unused:UNUSED_PAD src0_sel:WORD_1 src1_sel:DWORD
	v_mad_u64_u32 v[14:15], s[22:23], s16, v54, 0
	v_mov_b32_e32 v2, v15
	v_mad_u64_u32 v[16:17], s[22:23], s17, v54, v[2:3]
	v_mov_b32_e32 v15, v16
	s_mov_b32 s14, 0x7080690
	v_mul_lo_u32 v2, s18, v18
	v_lshl_add_u64 v[14:15], v[14:15], 2, s[4:5]
	v_pk_add_u16 v55, v0, s14 op_sel_hi:[0,1]
	v_lshl_add_u64 v[14:15], v[2:3], 2, v[14:15]
	v_and_b32_e32 v2, 0x7ff, v55
	v_mul_u32_u24_e32 v56, 0xf10, v2
	v_lshrrev_b32_e32 v57, 16, v56
	v_mul_lo_u16_e32 v2, 17, v57
	v_sub_u16_e32 v58, v55, v2
	v_mad_u64_u32 v[16:17], s[22:23], s16, v58, 0
	v_mov_b32_e32 v2, v17
	v_mad_u64_u32 v[18:19], s[22:23], s17, v58, v[2:3]
	v_mov_b32_e32 v17, v18
	global_load_dword v18, v[4:5], off
	v_mul_u32_u24_sdwa v19, v55, s11 dst_sel:DWORD dst_unused:UNUSED_PAD src0_sel:WORD_1 src1_sel:DWORD
	v_mul_lo_u32 v2, s18, v57
	global_load_dword v57, v[8:9], off
	v_lshl_add_u64 v[4:5], v[16:17], 2, s[4:5]
	global_load_dword v16, v[6:7], off
	v_lshrrev_b32_e32 v17, 16, v19
	global_load_dword v10, v[10:11], off
	v_lshl_add_u64 v[4:5], v[2:3], 2, v[4:5]
	v_mul_lo_u16_e32 v2, 17, v17
	v_sub_u16_sdwa v55, v55, v2 dst_sel:DWORD dst_unused:UNUSED_PAD src0_sel:WORD_1 src1_sel:DWORD
	v_mad_u64_u32 v[6:7], s[22:23], s16, v55, 0
	v_mov_b32_e32 v2, v7
	v_mad_u64_u32 v[8:9], s[22:23], s17, v55, v[2:3]
	v_mov_b32_e32 v7, v8
	v_mul_lo_u32 v2, s18, v17
	v_lshl_add_u64 v[6:7], v[6:7], 2, s[4:5]
	v_lshl_add_u64 v[6:7], v[2:3], 2, v[6:7]
	v_or_b32_e32 v2, 0x780, v0
	global_load_dword v8, v[12:13], off
	global_load_dword v9, v[14:15], off
	;; [unrolled: 1-line block ×4, first 2 shown]
	v_mul_u32_u24_sdwa v4, v2, s11 dst_sel:DWORD dst_unused:UNUSED_PAD src0_sel:WORD_0 src1_sel:DWORD
	v_lshrrev_b32_e32 v12, 16, v4
	v_mul_lo_u16_e32 v4, 17, v12
	v_sub_u16_e32 v13, v2, v4
	v_mad_u64_u32 v[4:5], s[22:23], s16, v13, 0
	v_mov_b32_e32 v2, v5
	v_mad_u64_u32 v[6:7], s[16:17], s17, v13, v[2:3]
	v_mov_b32_e32 v5, v6
	v_mul_lo_u32 v2, s18, v12
	v_lshl_add_u64 v[4:5], v[4:5], 2, s[4:5]
	v_lshl_add_u64 v[4:5], v[2:3], 2, v[4:5]
	global_load_dword v2, v[4:5], off
	v_mul_u32_u24_e32 v4, 0x48, v23
	v_lshlrev_b32_e32 v5, 2, v24
	v_add3_u32 v4, 0, v4, v5
	s_mov_b32 s4, 0x7060302
	s_movk_i32 s10, 0x48
	s_waitcnt vmcnt(16)
	ds_write_b32 v22, v20
	s_waitcnt vmcnt(15)
	ds_write_b32 v4, v21
	v_perm_b32 v4, v27, v25, s4
	v_pk_mul_lo_u16 v4, v4, s10 op_sel_hi:[1,0]
	v_lshlrev_b32_e32 v6, 2, v26
	v_and_b32_e32 v5, 0xfff8, v4
	v_add3_u32 v5, 0, v5, v6
	s_waitcnt vmcnt(14)
	ds_write_b32 v5, v36
	v_lshrrev_b32_e32 v4, 16, v4
	v_lshlrev_b32_e32 v5, 2, v28
	v_add3_u32 v4, 0, v4, v5
	s_waitcnt vmcnt(13)
	ds_write_b32 v4, v38
	v_perm_b32 v4, v31, v29, s4
	v_pk_mul_lo_u16 v4, v4, s10 op_sel_hi:[1,0]
	v_lshlrev_b32_e32 v6, 2, v30
	v_and_b32_e32 v5, 0xfff8, v4
	v_add3_u32 v5, 0, v5, v6
	s_waitcnt vmcnt(12)
	ds_write_b32 v5, v39
	v_lshrrev_b32_e32 v4, 16, v4
	v_lshlrev_b32_e32 v5, 2, v32
	v_add3_u32 v4, 0, v4, v5
	;; [unrolled: 12-line block ×3, first 2 shown]
	s_waitcnt vmcnt(9)
	ds_write_b32 v4, v42
	v_perm_b32 v4, v45, v43, s4
	v_pk_mul_lo_u16 v4, v4, s10 op_sel_hi:[1,0]
	v_lshlrev_b32_e32 v6, 2, v44
	v_and_b32_e32 v5, 0xfff8, v4
	v_add3_u32 v5, 0, v5, v6
	v_lshrrev_b32_e32 v4, 16, v4
	v_lshlrev_b32_e32 v6, 2, v48
	s_waitcnt vmcnt(8)
	ds_write_b32 v5, v18
	v_lshlrev_b32_e32 v5, 2, v46
	v_add3_u32 v4, 0, v4, v5
	v_mad_u32_u24 v1, v1, s10, 0
	s_mul_i32 s2, s12, s21
	s_waitcnt vmcnt(6)
	ds_write_b32 v4, v16
	v_perm_b32 v4, v49, v47, s4
	v_pk_mul_lo_u16 v4, v4, s10 op_sel_hi:[1,0]
	s_mul_i32 s8, s8, s20
	v_and_b32_e32 v5, 0xfff8, v4
	v_add3_u32 v5, 0, v5, v6
	ds_write_b32 v5, v57
	v_lshrrev_b32_e32 v4, 16, v4
	v_lshlrev_b32_e32 v5, 2, v50
	v_add3_u32 v4, 0, v4, v5
	s_waitcnt vmcnt(5)
	ds_write_b32 v4, v10
	v_perm_b32 v4, v53, v51, s4
	v_pk_mul_lo_u16 v4, v4, s10 op_sel_hi:[1,0]
	v_lshlrev_b32_e32 v6, 2, v52
	v_and_b32_e32 v5, 0xfff8, v4
	v_add3_u32 v5, 0, v5, v6
	s_waitcnt vmcnt(4)
	ds_write_b32 v5, v8
	v_lshrrev_b32_e32 v4, 16, v4
	v_lshlrev_b32_e32 v5, 2, v54
	v_add3_u32 v4, 0, v4, v5
	s_waitcnt vmcnt(3)
	ds_write_b32 v4, v9
	v_perm_b32 v4, v19, v56, s4
	v_pk_mul_lo_u16 v4, v4, s10 op_sel_hi:[1,0]
	v_lshlrev_b32_e32 v6, 2, v58
	v_and_b32_e32 v5, 0xfff8, v4
	v_add3_u32 v5, 0, v5, v6
	s_waitcnt vmcnt(2)
	ds_write_b32 v5, v11
	v_lshrrev_b32_e32 v4, 16, v4
	v_lshlrev_b32_e32 v5, 2, v55
	v_add3_u32 v4, 0, v4, v5
	s_waitcnt vmcnt(1)
	ds_write_b32 v4, v17
	v_mul_u32_u24_e32 v4, 0x48, v12
	v_lshlrev_b32_e32 v5, 2, v13
	v_add3_u32 v4, 0, v4, v5
	s_waitcnt vmcnt(0)
	ds_write_b32 v4, v2
	s_waitcnt lgkmcnt(0)
	s_barrier
	ds_read2_b32 v[4:5], v1 offset0:8 offset1:9
	ds_read2_b32 v[18:19], v1 offset0:1 offset1:2
	;; [unrolled: 1-line block ×4, first 2 shown]
	ds_read2_b32 v[6:7], v1 offset1:7
	ds_read2_b32 v[8:9], v1 offset0:10 offset1:11
	ds_read2_b32 v[12:13], v1 offset0:12 offset1:13
	ds_read_b32 v17, v1 offset:64
	ds_read2_b32 v[20:21], v1 offset0:14 offset1:15
	s_mov_b32 s21, 0xb5c8
	s_waitcnt lgkmcnt(4)
	v_add_f16_e32 v2, v18, v6
	v_add_f16_sdwa v22, v18, v6 dst_sel:DWORD dst_unused:UNUSED_PAD src0_sel:WORD_1 src1_sel:WORD_1
	v_add_f16_e32 v2, v2, v19
	v_add_f16_sdwa v22, v22, v19 dst_sel:DWORD dst_unused:UNUSED_PAD src0_sel:DWORD src1_sel:WORD_1
	v_add_f16_e32 v2, v2, v14
	v_add_f16_sdwa v22, v22, v14 dst_sel:DWORD dst_unused:UNUSED_PAD src0_sel:DWORD src1_sel:WORD_1
	v_add_f16_e32 v2, v2, v15
	v_add_f16_sdwa v22, v22, v15 dst_sel:DWORD dst_unused:UNUSED_PAD src0_sel:DWORD src1_sel:WORD_1
	v_add_f16_e32 v2, v2, v10
	v_add_f16_sdwa v22, v22, v10 dst_sel:DWORD dst_unused:UNUSED_PAD src0_sel:DWORD src1_sel:WORD_1
	v_add_f16_e32 v2, v2, v11
	v_add_f16_sdwa v22, v22, v11 dst_sel:DWORD dst_unused:UNUSED_PAD src0_sel:DWORD src1_sel:WORD_1
	v_add_f16_e32 v2, v2, v7
	v_add_f16_sdwa v22, v22, v7 dst_sel:DWORD dst_unused:UNUSED_PAD src0_sel:DWORD src1_sel:WORD_1
	v_add_f16_e32 v2, v2, v4
	v_add_f16_sdwa v22, v22, v4 dst_sel:DWORD dst_unused:UNUSED_PAD src0_sel:DWORD src1_sel:WORD_1
	v_add_f16_e32 v2, v2, v5
	v_add_f16_sdwa v22, v22, v5 dst_sel:DWORD dst_unused:UNUSED_PAD src0_sel:DWORD src1_sel:WORD_1
	s_waitcnt lgkmcnt(3)
	v_add_f16_e32 v2, v2, v8
	v_add_f16_sdwa v22, v22, v8 dst_sel:DWORD dst_unused:UNUSED_PAD src0_sel:DWORD src1_sel:WORD_1
	v_add_f16_e32 v2, v2, v9
	v_add_f16_sdwa v22, v22, v9 dst_sel:DWORD dst_unused:UNUSED_PAD src0_sel:DWORD src1_sel:WORD_1
	s_waitcnt lgkmcnt(2)
	v_add_f16_e32 v2, v2, v12
	v_add_f16_sdwa v22, v22, v12 dst_sel:DWORD dst_unused:UNUSED_PAD src0_sel:DWORD src1_sel:WORD_1
	v_add_f16_e32 v2, v2, v13
	v_add_f16_sdwa v22, v22, v13 dst_sel:DWORD dst_unused:UNUSED_PAD src0_sel:DWORD src1_sel:WORD_1
	;; [unrolled: 5-line block ×3, first 2 shown]
	v_add_f16_e32 v2, v2, v17
	v_add_f16_sdwa v22, v22, v17 dst_sel:WORD_1 dst_unused:UNUSED_PAD src0_sel:DWORD src1_sel:WORD_1
	v_alignbit_b32 v18, v18, v18, 16
	v_or_b32_e32 v2, v22, v2
	v_pk_add_f16 v22, v17, v18 op_sel:[1,0] op_sel_hi:[0,1]
	v_pk_add_f16 v17, v18, v17 op_sel:[0,1] op_sel_hi:[1,0] neg_lo:[0,1] neg_hi:[0,1]
	v_lshrrev_b32_e32 v18, 16, v22
	v_mul_f16_e32 v23, 0xb5c8, v17
	s_movk_i32 s22, 0x3b76
	v_mul_f16_e32 v25, 0x3b76, v22
	v_lshrrev_b32_e32 v26, 16, v17
	s_movk_i32 s23, 0x35c8
	s_mov_b32 s16, 0xb964
	v_mul_f16_e32 v28, 0xb964, v17
	s_movk_i32 s17, 0x39e9
	v_mul_f16_e32 v30, 0x39e9, v22
	s_movk_i32 s18, 0x3964
	s_mov_b32 s5, 0xbb29
	v_mul_f16_e32 v32, 0xbb29, v17
	s_movk_i32 s10, 0x3722
	v_mul_f16_e32 v34, 0x3722, v22
	s_movk_i32 s11, 0x3b29
	;; [unrolled: 2-line block ×4, first 2 shown]
	s_mov_b32 s20, 0xbbb2
	v_mul_f16_e32 v40, 0xbbb2, v17
	s_mov_b32 s24, 0xb461
	v_mul_f16_e32 v42, 0xb461, v22
	s_movk_i32 s25, 0x3bb2
	s_mov_b32 s26, 0xba62
	v_mul_f16_e32 v44, 0xba62, v17
	s_mov_b32 s27, 0xb8d2
	v_mul_f16_e32 v46, 0xb8d2, v22
	s_movk_i32 s28, 0x3a62
	s_mov_b32 s29, 0xb836
	v_mul_f16_e32 v48, 0xb836, v17
	v_mul_f16_e32 v50, 0xbacd, v22
	v_pk_mul_f16 v17, v17, s33 op_sel_hi:[1,0]
	v_fma_f16 v24, v18, s22, v23
	v_fma_f16 v27, v26, s23, v25
	v_fma_f16 v23, v18, s22, -v23
	v_fma_f16 v25, v26, s21, v25
	v_fma_f16 v29, v18, s17, v28
	v_fma_f16 v31, v26, s18, v30
	v_fma_f16 v28, v18, s17, -v28
	v_fma_f16 v30, v26, s16, v30
	;; [unrolled: 4-line block ×7, first 2 shown]
	v_pk_fma_f16 v48, v22, s34, v17 op_sel:[0,0,1] op_sel_hi:[1,0,0]
	v_pk_fma_f16 v17, v22, s34, v17 op_sel:[0,0,1] op_sel_hi:[1,0,0] neg_lo:[0,0,1] neg_hi:[0,0,1]
	v_add_f16_e32 v24, v24, v6
	v_add_f16_sdwa v27, v27, v6 dst_sel:DWORD dst_unused:UNUSED_PAD src0_sel:DWORD src1_sel:WORD_1
	v_add_f16_e32 v23, v23, v6
	v_add_f16_sdwa v25, v25, v6 dst_sel:DWORD dst_unused:UNUSED_PAD src0_sel:DWORD src1_sel:WORD_1
	;; [unrolled: 2-line block ×14, first 2 shown]
	v_pk_add_f16 v48, v48, v6 op_sel:[0,1] op_sel_hi:[1,0]
	v_pk_add_f16 v6, v17, v6 op_sel:[0,1] op_sel_hi:[1,0]
	v_pk_add_f16 v17, v21, v19
	v_pk_add_f16 v19, v19, v21 neg_lo:[0,1] neg_hi:[0,1]
	v_alignbit_b32 v16, v5, v4, 16
	v_mul_f16_sdwa v21, v19, s16 dst_sel:DWORD dst_unused:UNUSED_PAD src0_sel:WORD_1 src1_sel:DWORD
	v_fma_f16 v22, v17, s17, v21
	v_add_f16_e32 v22, v22, v24
	v_mul_f16_sdwa v24, v17, s17 dst_sel:DWORD dst_unused:UNUSED_PAD src0_sel:WORD_1 src1_sel:DWORD
	v_fma_f16 v21, v17, s17, -v21
	v_fma_f16 v50, v19, s18, v24
	v_add_f16_e32 v21, v21, v23
	v_fma_f16 v23, v19, s16, v24
	v_mul_f16_sdwa v24, v19, s35 dst_sel:DWORD dst_unused:UNUSED_PAD src0_sel:WORD_1 src1_sel:DWORD
	v_add_f16_e32 v23, v23, v25
	v_fma_f16 v25, v17, s4, v24
	v_add_f16_e32 v25, v25, v29
	v_mul_f16_sdwa v29, v17, s4 dst_sel:DWORD dst_unused:UNUSED_PAD src0_sel:WORD_1 src1_sel:DWORD
	v_fma_f16 v24, v17, s4, -v24
	v_add_f16_e32 v27, v50, v27
	v_fma_f16 v50, v19, s14, v29
	v_add_f16_e32 v24, v24, v28
	v_fma_f16 v28, v19, s35, v29
	v_mul_f16_sdwa v29, v19, s26 dst_sel:DWORD dst_unused:UNUSED_PAD src0_sel:WORD_1 src1_sel:DWORD
	v_add_f16_e32 v28, v28, v30
	v_fma_f16 v30, v17, s27, v29
	v_add_f16_e32 v30, v30, v33
	v_mul_f16_sdwa v33, v17, s27 dst_sel:DWORD dst_unused:UNUSED_PAD src0_sel:WORD_1 src1_sel:DWORD
	v_fma_f16 v29, v17, s27, -v29
	v_add_f16_e32 v31, v50, v31
	v_fma_f16 v50, v19, s28, v33
	v_add_f16_e32 v29, v29, v32
	v_fma_f16 v32, v19, s26, v33
	v_mul_f16_sdwa v33, v19, s33 dst_sel:DWORD dst_unused:UNUSED_PAD src0_sel:WORD_1 src1_sel:DWORD
	v_add_f16_e32 v32, v32, v34
	v_fma_f16 v34, v17, s34, v33
	v_add_f16_e32 v34, v34, v37
	v_mul_f16_sdwa v37, v17, s34 dst_sel:DWORD dst_unused:UNUSED_PAD src0_sel:WORD_1 src1_sel:DWORD
	v_fma_f16 v33, v17, s34, -v33
	v_add_f16_e32 v35, v50, v35
	v_fma_f16 v50, v19, s36, v37
	v_add_f16_e32 v33, v33, v36
	v_fma_f16 v36, v19, s33, v37
	v_mul_f16_sdwa v37, v19, s31 dst_sel:DWORD dst_unused:UNUSED_PAD src0_sel:WORD_1 src1_sel:DWORD
	v_add_f16_e32 v36, v36, v38
	v_fma_f16 v38, v17, s30, v37
	v_add_f16_e32 v38, v38, v41
	v_mul_f16_sdwa v41, v17, s30 dst_sel:DWORD dst_unused:UNUSED_PAD src0_sel:WORD_1 src1_sel:DWORD
	v_fma_f16 v37, v17, s30, -v37
	v_add_f16_e32 v39, v50, v39
	v_fma_f16 v50, v19, s29, v41
	v_add_f16_e32 v37, v37, v40
	v_fma_f16 v40, v19, s31, v41
	v_mul_f16_sdwa v41, v19, s25 dst_sel:DWORD dst_unused:UNUSED_PAD src0_sel:WORD_1 src1_sel:DWORD
	v_add_f16_e32 v40, v40, v42
	v_fma_f16 v42, v17, s24, v41
	v_add_f16_e32 v42, v42, v45
	v_mul_f16_sdwa v45, v17, s24 dst_sel:DWORD dst_unused:UNUSED_PAD src0_sel:WORD_1 src1_sel:DWORD
	v_fma_f16 v41, v17, s24, -v41
	v_add_f16_e32 v43, v50, v43
	v_fma_f16 v50, v19, s20, v45
	v_add_f16_e32 v41, v41, v44
	v_fma_f16 v44, v19, s25, v45
	v_mul_f16_sdwa v45, v19, s11 dst_sel:DWORD dst_unused:UNUSED_PAD src0_sel:WORD_1 src1_sel:DWORD
	v_add_f16_e32 v44, v44, v46
	v_fma_f16 v46, v17, s10, v45
	v_add_f16_e32 v46, v46, v49
	v_mul_f16_sdwa v49, v17, s10 dst_sel:DWORD dst_unused:UNUSED_PAD src0_sel:WORD_1 src1_sel:DWORD
	v_fma_f16 v45, v17, s10, -v45
	v_add_f16_e32 v18, v45, v18
	v_fma_f16 v45, v19, s11, v49
	v_pk_mul_f16 v17, v17, s22 op_sel_hi:[1,0]
	v_add_f16_e32 v26, v45, v26
	v_pk_fma_f16 v45, v19, s23, v17 op_sel:[0,0,1] op_sel_hi:[1,0,0]
	v_pk_fma_f16 v17, v19, s23, v17 op_sel:[0,0,1] op_sel_hi:[1,0,0] neg_lo:[1,0,0] neg_hi:[1,0,0]
	v_add_f16_e32 v47, v50, v47
	v_pk_add_f16 v6, v17, v6
	v_pk_add_f16 v17, v20, v14
	v_pk_add_f16 v14, v14, v20 neg_lo:[0,1] neg_hi:[0,1]
	v_fma_f16 v50, v19, s5, v49
	v_mul_f16_sdwa v19, v14, s5 dst_sel:DWORD dst_unused:UNUSED_PAD src0_sel:WORD_1 src1_sel:DWORD
	v_fma_f16 v20, v17, s10, v19
	v_add_f16_e32 v20, v20, v22
	v_mul_f16_sdwa v22, v17, s10 dst_sel:DWORD dst_unused:UNUSED_PAD src0_sel:WORD_1 src1_sel:DWORD
	v_fma_f16 v19, v17, s10, -v19
	v_pk_add_f16 v45, v45, v48
	v_fma_f16 v48, v14, s11, v22
	v_add_f16_e32 v19, v19, v21
	v_fma_f16 v21, v14, s5, v22
	v_mul_f16_sdwa v22, v14, s26 dst_sel:DWORD dst_unused:UNUSED_PAD src0_sel:WORD_1 src1_sel:DWORD
	v_add_f16_e32 v21, v21, v23
	v_fma_f16 v23, v17, s27, v22
	v_add_f16_e32 v23, v23, v25
	v_mul_f16_sdwa v25, v17, s27 dst_sel:DWORD dst_unused:UNUSED_PAD src0_sel:WORD_1 src1_sel:DWORD
	v_fma_f16 v22, v17, s27, -v22
	v_add_f16_e32 v27, v48, v27
	v_fma_f16 v48, v14, s28, v25
	v_add_f16_e32 v22, v22, v24
	v_fma_f16 v24, v14, s26, v25
	v_mul_f16_sdwa v25, v14, s36 dst_sel:DWORD dst_unused:UNUSED_PAD src0_sel:WORD_1 src1_sel:DWORD
	v_add_f16_e32 v24, v24, v28
	v_fma_f16 v28, v17, s34, v25
	v_add_f16_e32 v28, v28, v30
	v_mul_f16_sdwa v30, v17, s34 dst_sel:DWORD dst_unused:UNUSED_PAD src0_sel:WORD_1 src1_sel:DWORD
	v_fma_f16 v25, v17, s34, -v25
	v_add_f16_e32 v31, v48, v31
	;; [unrolled: 10-line block ×6, first 2 shown]
	v_fma_f16 v42, v14, s35, v46
	v_pk_mul_f16 v17, v17, s30 op_sel_hi:[1,0]
	v_add_f16_e32 v47, v48, v47
	v_fma_f16 v48, v14, s14, v46
	v_add_f16_e32 v26, v42, v26
	v_pk_fma_f16 v42, v14, s29, v17 op_sel:[0,0,1] op_sel_hi:[1,0,0]
	v_pk_fma_f16 v14, v14, s29, v17 op_sel:[0,0,1] op_sel_hi:[1,0,0] neg_lo:[1,0,0] neg_hi:[1,0,0]
	v_pk_add_f16 v42, v42, v45
	v_pk_add_f16 v6, v14, v6
	;; [unrolled: 1-line block ×3, first 2 shown]
	v_pk_add_f16 v13, v15, v13 neg_lo:[0,1] neg_hi:[0,1]
	v_add_f16_e32 v50, v50, v51
	v_mul_f16_sdwa v15, v13, s35 dst_sel:DWORD dst_unused:UNUSED_PAD src0_sel:WORD_1 src1_sel:DWORD
	v_fma_f16 v17, v14, s4, v15
	v_add_f16_e32 v17, v17, v20
	v_mul_f16_sdwa v20, v14, s4 dst_sel:DWORD dst_unused:UNUSED_PAD src0_sel:WORD_1 src1_sel:DWORD
	v_fma_f16 v15, v14, s4, -v15
	v_fma_f16 v45, v13, s14, v20
	v_add_f16_e32 v15, v15, v19
	v_fma_f16 v19, v13, s35, v20
	v_mul_f16_sdwa v20, v13, s33 dst_sel:DWORD dst_unused:UNUSED_PAD src0_sel:WORD_1 src1_sel:DWORD
	v_add_f16_e32 v19, v19, v21
	v_fma_f16 v21, v14, s34, v20
	v_add_f16_e32 v21, v21, v23
	v_mul_f16_sdwa v23, v14, s34 dst_sel:DWORD dst_unused:UNUSED_PAD src0_sel:WORD_1 src1_sel:DWORD
	v_fma_f16 v20, v14, s34, -v20
	v_add_f16_e32 v27, v45, v27
	v_fma_f16 v45, v13, s36, v23
	v_add_f16_e32 v20, v20, v22
	v_fma_f16 v22, v13, s33, v23
	v_mul_f16_sdwa v23, v13, s25 dst_sel:DWORD dst_unused:UNUSED_PAD src0_sel:WORD_1 src1_sel:DWORD
	v_add_f16_e32 v22, v22, v24
	v_fma_f16 v24, v14, s24, v23
	v_add_f16_e32 v24, v24, v28
	v_mul_f16_sdwa v28, v14, s24 dst_sel:DWORD dst_unused:UNUSED_PAD src0_sel:WORD_1 src1_sel:DWORD
	v_fma_f16 v23, v14, s24, -v23
	v_add_f16_e32 v31, v45, v31
	;; [unrolled: 10-line block ×6, first 2 shown]
	v_fma_f16 v40, v13, s28, v44
	v_pk_mul_f16 v14, v14, s17 op_sel_hi:[1,0]
	v_fma_f16 v46, v13, s26, v44
	v_add_f16_e32 v26, v40, v26
	v_pk_fma_f16 v40, v13, s18, v14 op_sel:[0,0,1] op_sel_hi:[1,0,0]
	v_pk_fma_f16 v13, v13, s18, v14 op_sel:[0,0,1] op_sel_hi:[1,0,0] neg_lo:[1,0,0] neg_hi:[1,0,0]
	v_pk_add_f16 v40, v40, v42
	v_pk_add_f16 v6, v13, v6
	;; [unrolled: 1-line block ×3, first 2 shown]
	v_pk_add_f16 v10, v10, v12 neg_lo:[0,1] neg_hi:[0,1]
	v_add_f16_e32 v48, v48, v50
	v_mul_f16_sdwa v12, v10, s20 dst_sel:DWORD dst_unused:UNUSED_PAD src0_sel:WORD_1 src1_sel:DWORD
	v_fma_f16 v14, v13, s24, v12
	v_add_f16_e32 v14, v14, v17
	v_mul_f16_sdwa v17, v13, s24 dst_sel:DWORD dst_unused:UNUSED_PAD src0_sel:WORD_1 src1_sel:DWORD
	v_fma_f16 v12, v13, s24, -v12
	v_fma_f16 v42, v10, s25, v17
	v_add_f16_e32 v12, v12, v15
	v_fma_f16 v15, v10, s20, v17
	v_mul_f16_sdwa v17, v10, s31 dst_sel:DWORD dst_unused:UNUSED_PAD src0_sel:WORD_1 src1_sel:DWORD
	v_add_f16_e32 v15, v15, v19
	v_fma_f16 v19, v13, s30, v17
	v_add_f16_e32 v19, v19, v21
	v_mul_f16_sdwa v21, v13, s30 dst_sel:DWORD dst_unused:UNUSED_PAD src0_sel:WORD_1 src1_sel:DWORD
	v_fma_f16 v17, v13, s30, -v17
	v_add_f16_e32 v27, v42, v27
	v_fma_f16 v42, v10, s29, v21
	v_add_f16_e32 v17, v17, v20
	v_fma_f16 v20, v10, s31, v21
	v_mul_f16_sdwa v21, v10, s18 dst_sel:DWORD dst_unused:UNUSED_PAD src0_sel:WORD_1 src1_sel:DWORD
	v_add_f16_e32 v20, v20, v22
	v_fma_f16 v22, v13, s17, v21
	v_add_f16_e32 v22, v22, v24
	v_mul_f16_sdwa v24, v13, s17 dst_sel:DWORD dst_unused:UNUSED_PAD src0_sel:WORD_1 src1_sel:DWORD
	v_fma_f16 v21, v13, s17, -v21
	v_add_f16_e32 v31, v42, v31
	v_fma_f16 v42, v10, s16, v24
	v_add_f16_e32 v21, v21, v23
	v_fma_f16 v23, v10, s18, v24
	v_mul_f16_sdwa v24, v10, s5 dst_sel:DWORD dst_unused:UNUSED_PAD src0_sel:WORD_1 src1_sel:DWORD
	v_add_f16_e32 v23, v23, v25
	v_fma_f16 v25, v13, s10, v24
	v_add_f16_e32 v25, v25, v29
	v_mul_f16_sdwa v29, v13, s10 dst_sel:DWORD dst_unused:UNUSED_PAD src0_sel:WORD_1 src1_sel:DWORD
	v_fma_f16 v24, v13, s10, -v24
	v_add_f16_e32 v35, v42, v35
	v_fma_f16 v42, v10, s11, v29
	v_add_f16_e32 v24, v24, v28
	v_fma_f16 v28, v10, s5, v29
	v_mul_f16_sdwa v29, v10, s33 dst_sel:DWORD dst_unused:UNUSED_PAD src0_sel:WORD_1 src1_sel:DWORD
	v_add_f16_e32 v28, v28, v30
	v_fma_f16 v30, v13, s34, v29
	v_add_f16_e32 v30, v30, v33
	v_mul_f16_sdwa v33, v13, s34 dst_sel:DWORD dst_unused:UNUSED_PAD src0_sel:WORD_1 src1_sel:DWORD
	v_fma_f16 v29, v13, s34, -v29
	v_add_f16_e32 v39, v42, v39
	v_fma_f16 v42, v10, s36, v33
	v_add_f16_e32 v29, v29, v32
	v_fma_f16 v32, v10, s33, v33
	v_mul_f16_sdwa v33, v10, s14 dst_sel:DWORD dst_unused:UNUSED_PAD src0_sel:WORD_1 src1_sel:DWORD
	v_add_f16_e32 v32, v32, v34
	v_fma_f16 v34, v13, s4, v33
	v_add_f16_e32 v34, v34, v37
	v_mul_f16_sdwa v37, v13, s4 dst_sel:DWORD dst_unused:UNUSED_PAD src0_sel:WORD_1 src1_sel:DWORD
	v_fma_f16 v33, v13, s4, -v33
	v_add_f16_e32 v42, v42, v43
	v_fma_f16 v43, v10, s35, v37
	v_add_f16_e32 v33, v33, v36
	v_fma_f16 v36, v10, s14, v37
	v_mul_f16_sdwa v37, v10, s21 dst_sel:DWORD dst_unused:UNUSED_PAD src0_sel:WORD_1 src1_sel:DWORD
	v_add_f16_e32 v36, v36, v38
	v_fma_f16 v38, v13, s22, v37
	v_add_f16_e32 v38, v38, v41
	v_mul_f16_sdwa v41, v13, s22 dst_sel:DWORD dst_unused:UNUSED_PAD src0_sel:WORD_1 src1_sel:DWORD
	v_fma_f16 v37, v13, s22, -v37
	v_add_f16_e32 v18, v37, v18
	v_fma_f16 v37, v10, s21, v41
	v_pk_mul_f16 v13, v13, s27 op_sel_hi:[1,0]
	v_fma_f16 v44, v10, s23, v41
	v_add_f16_e32 v26, v37, v26
	v_pk_fma_f16 v37, v10, s26, v13 op_sel:[0,0,1] op_sel_hi:[1,0,0]
	v_pk_fma_f16 v10, v10, s26, v13 op_sel:[0,0,1] op_sel_hi:[1,0,0] neg_lo:[1,0,0] neg_hi:[1,0,0]
	v_pk_add_f16 v37, v37, v40
	v_pk_add_f16 v6, v10, v6
	;; [unrolled: 1-line block ×3, first 2 shown]
	v_pk_add_f16 v9, v11, v9 neg_lo:[0,1] neg_hi:[0,1]
	v_add_f16_e32 v45, v45, v47
	v_mul_f16_sdwa v11, v9, s26 dst_sel:DWORD dst_unused:UNUSED_PAD src0_sel:WORD_1 src1_sel:DWORD
	v_fma_f16 v13, v10, s27, v11
	v_add_f16_e32 v13, v13, v14
	v_mul_f16_sdwa v14, v10, s27 dst_sel:DWORD dst_unused:UNUSED_PAD src0_sel:WORD_1 src1_sel:DWORD
	v_fma_f16 v11, v10, s27, -v11
	v_fma_f16 v40, v9, s28, v14
	v_add_f16_e32 v11, v11, v12
	v_fma_f16 v12, v9, s26, v14
	v_mul_f16_sdwa v14, v9, s25 dst_sel:DWORD dst_unused:UNUSED_PAD src0_sel:WORD_1 src1_sel:DWORD
	v_add_f16_e32 v12, v12, v15
	v_fma_f16 v15, v10, s24, v14
	v_add_f16_e32 v15, v15, v19
	v_mul_f16_sdwa v19, v10, s24 dst_sel:DWORD dst_unused:UNUSED_PAD src0_sel:WORD_1 src1_sel:DWORD
	v_fma_f16 v14, v10, s24, -v14
	v_add_f16_e32 v27, v40, v27
	v_fma_f16 v40, v9, s20, v19
	v_add_f16_e32 v14, v14, v17
	v_fma_f16 v17, v9, s25, v19
	v_mul_f16_sdwa v19, v9, s21 dst_sel:DWORD dst_unused:UNUSED_PAD src0_sel:WORD_1 src1_sel:DWORD
	v_add_f16_e32 v17, v17, v20
	v_fma_f16 v20, v10, s22, v19
	v_add_f16_e32 v20, v20, v22
	v_mul_f16_sdwa v22, v10, s22 dst_sel:DWORD dst_unused:UNUSED_PAD src0_sel:WORD_1 src1_sel:DWORD
	v_fma_f16 v19, v10, s22, -v19
	v_add_f16_e32 v31, v40, v31
	;; [unrolled: 10-line block ×4, first 2 shown]
	v_fma_f16 v40, v9, s35, v30
	v_add_f16_e32 v25, v25, v29
	v_fma_f16 v29, v9, s14, v30
	v_mul_f16_sdwa v30, v9, s16 dst_sel:DWORD dst_unused:UNUSED_PAD src0_sel:WORD_1 src1_sel:DWORD
	v_add_f16_e32 v29, v29, v32
	v_fma_f16 v32, v10, s17, v30
	v_add_f16_e32 v32, v32, v34
	v_mul_f16_sdwa v34, v10, s17 dst_sel:DWORD dst_unused:UNUSED_PAD src0_sel:WORD_1 src1_sel:DWORD
	v_fma_f16 v30, v10, s17, -v30
	v_fma_f16 v41, v9, s18, v34
	v_add_f16_e32 v30, v30, v33
	v_fma_f16 v33, v9, s16, v34
	v_mul_f16_sdwa v34, v9, s33 dst_sel:DWORD dst_unused:UNUSED_PAD src0_sel:WORD_1 src1_sel:DWORD
	v_add_f16_e32 v33, v33, v36
	v_fma_f16 v36, v10, s34, v34
	v_add_f16_e32 v36, v36, v38
	v_mul_f16_sdwa v38, v10, s34 dst_sel:DWORD dst_unused:UNUSED_PAD src0_sel:WORD_1 src1_sel:DWORD
	v_fma_f16 v34, v10, s34, -v34
	v_add_f16_e32 v18, v34, v18
	v_fma_f16 v34, v9, s33, v38
	v_pk_mul_f16 v10, v10, s10 op_sel_hi:[1,0]
	v_add_f16_e32 v40, v40, v42
	v_fma_f16 v42, v9, s36, v38
	v_add_f16_e32 v26, v34, v26
	v_pk_fma_f16 v34, v9, s11, v10 op_sel:[0,0,1] op_sel_hi:[1,0,0]
	v_pk_fma_f16 v9, v9, s11, v10 op_sel:[0,0,1] op_sel_hi:[1,0,0] neg_lo:[1,0,0] neg_hi:[1,0,0]
	v_pk_add_f16 v34, v34, v37
	v_pk_add_f16 v6, v9, v6
	;; [unrolled: 1-line block ×3, first 2 shown]
	v_pk_add_f16 v7, v7, v8 neg_lo:[0,1] neg_hi:[0,1]
	v_add_f16_e32 v46, v46, v48
	v_mul_f16_sdwa v8, v7, s29 dst_sel:DWORD dst_unused:UNUSED_PAD src0_sel:WORD_1 src1_sel:DWORD
	v_fma_f16 v10, v9, s30, v8
	v_add_f16_e32 v10, v10, v13
	v_mul_f16_sdwa v13, v9, s30 dst_sel:DWORD dst_unused:UNUSED_PAD src0_sel:WORD_1 src1_sel:DWORD
	v_fma_f16 v8, v9, s30, -v8
	v_add_f16_e32 v8, v8, v11
	v_fma_f16 v11, v7, s29, v13
	v_add_f16_e32 v11, v11, v12
	v_mul_f16_sdwa v12, v7, s11 dst_sel:DWORD dst_unused:UNUSED_PAD src0_sel:WORD_1 src1_sel:DWORD
	v_fma_f16 v37, v7, s31, v13
	v_fma_f16 v13, v9, s10, v12
	v_add_f16_e32 v13, v13, v15
	v_mul_f16_sdwa v15, v9, s10 dst_sel:DWORD dst_unused:UNUSED_PAD src0_sel:WORD_1 src1_sel:DWORD
	v_fma_f16 v12, v9, s10, -v12
	v_add_f16_e32 v27, v37, v27
	v_fma_f16 v37, v7, s5, v15
	v_add_f16_e32 v12, v12, v14
	v_fma_f16 v14, v7, s11, v15
	v_mul_f16_sdwa v15, v7, s35 dst_sel:DWORD dst_unused:UNUSED_PAD src0_sel:WORD_1 src1_sel:DWORD
	v_add_f16_e32 v14, v14, v17
	v_fma_f16 v17, v9, s4, v15
	v_add_f16_e32 v17, v17, v20
	v_mul_f16_sdwa v20, v9, s4 dst_sel:DWORD dst_unused:UNUSED_PAD src0_sel:WORD_1 src1_sel:DWORD
	v_fma_f16 v15, v9, s4, -v15
	v_add_f16_e32 v31, v37, v31
	v_fma_f16 v37, v7, s14, v20
	v_add_f16_e32 v15, v15, v19
	v_fma_f16 v19, v7, s35, v20
	v_mul_f16_sdwa v20, v7, s28 dst_sel:DWORD dst_unused:UNUSED_PAD src0_sel:WORD_1 src1_sel:DWORD
	v_add_f16_e32 v19, v19, v21
	;; [unrolled: 10-line block ×3, first 2 shown]
	v_fma_f16 v24, v9, s22, v23
	v_add_f16_e32 v24, v24, v28
	v_mul_f16_sdwa v28, v9, s22 dst_sel:DWORD dst_unused:UNUSED_PAD src0_sel:WORD_1 src1_sel:DWORD
	v_fma_f16 v23, v9, s22, -v23
	v_fma_f16 v38, v7, s23, v28
	v_add_f16_e32 v23, v23, v25
	v_fma_f16 v25, v7, s21, v28
	v_mul_f16_sdwa v28, v7, s33 dst_sel:DWORD dst_unused:UNUSED_PAD src0_sel:WORD_1 src1_sel:DWORD
	v_add_f16_e32 v25, v25, v29
	v_fma_f16 v29, v9, s34, v28
	v_add_f16_e32 v29, v29, v32
	v_mul_f16_sdwa v32, v9, s34 dst_sel:DWORD dst_unused:UNUSED_PAD src0_sel:WORD_1 src1_sel:DWORD
	v_fma_f16 v28, v9, s34, -v28
	v_add_f16_e32 v37, v37, v39
	v_fma_f16 v39, v7, s36, v32
	v_add_f16_e32 v28, v28, v30
	v_fma_f16 v30, v7, s33, v32
	v_mul_f16_sdwa v32, v7, s18 dst_sel:DWORD dst_unused:UNUSED_PAD src0_sel:WORD_1 src1_sel:DWORD
	v_add_f16_e32 v30, v30, v33
	v_fma_f16 v33, v9, s17, v32
	v_add_f16_e32 v33, v33, v36
	v_mul_f16_sdwa v36, v9, s17 dst_sel:DWORD dst_unused:UNUSED_PAD src0_sel:WORD_1 src1_sel:DWORD
	v_fma_f16 v32, v9, s17, -v32
	v_add_f16_e32 v18, v32, v18
	v_fma_f16 v32, v7, s18, v36
	v_pk_mul_f16 v9, v9, s24 op_sel_hi:[1,0]
	v_add_f16_e32 v38, v38, v40
	v_fma_f16 v40, v7, s16, v36
	v_add_f16_e32 v26, v32, v26
	v_pk_fma_f16 v32, v7, s20, v9 op_sel:[0,0,1] op_sel_hi:[1,0,0]
	v_pk_fma_f16 v7, v7, s20, v9 op_sel:[0,0,1] op_sel_hi:[1,0,0] neg_lo:[1,0,0] neg_hi:[1,0,0]
	v_pk_add_f16 v32, v32, v34
	v_pk_add_f16 v6, v7, v6
	v_alignbit_b32 v7, v4, v5, 16
	v_pk_add_f16 v7, v16, v7
	v_pk_add_f16 v4, v4, v5 neg_lo:[0,1] neg_hi:[0,1]
	v_lshrrev_b32_e32 v5, 16, v7
	v_mul_f16_sdwa v9, v4, s33 dst_sel:DWORD dst_unused:UNUSED_PAD src0_sel:WORD_1 src1_sel:DWORD
	v_fma_f16 v16, v5, s34, v9
	v_add_f16_e32 v10, v16, v10
	v_mul_f16_e32 v16, 0xbbdd, v7
	v_fma_f16 v9, v5, s34, -v9
	v_add_f16_e32 v8, v9, v8
	v_fma_f16 v9, v4, s33, v16
	v_add_f16_e32 v9, v9, v11
	v_mul_f16_sdwa v11, v4, s23 dst_sel:DWORD dst_unused:UNUSED_PAD src0_sel:WORD_1 src1_sel:DWORD
	v_fma_f16 v34, v4, s36, v16
	v_fma_f16 v16, v5, s22, v11
	v_add_f16_e32 v13, v16, v13
	v_mul_f16_e32 v16, 0x3b76, v7
	v_fma_f16 v11, v5, s22, -v11
	v_add_f16_e32 v11, v11, v12
	v_fma_f16 v12, v4, s23, v16
	v_add_f16_e32 v12, v12, v14
	v_mul_f16_sdwa v14, v4, s29 dst_sel:DWORD dst_unused:UNUSED_PAD src0_sel:WORD_1 src1_sel:DWORD
	v_add_f16_e32 v27, v34, v27
	v_fma_f16 v34, v4, s21, v16
	v_fma_f16 v16, v5, s30, v14
	v_add_f16_e32 v16, v16, v17
	v_mul_f16_e32 v17, 0xbacd, v7
	v_fma_f16 v14, v5, s30, -v14
	v_add_f16_e32 v31, v34, v31
	v_fma_f16 v34, v4, s31, v17
	v_add_f16_e32 v14, v14, v15
	v_fma_f16 v15, v4, s29, v17
	v_mul_f16_sdwa v17, v4, s18 dst_sel:DWORD dst_unused:UNUSED_PAD src0_sel:WORD_1 src1_sel:DWORD
	v_add_f16_e32 v15, v15, v19
	v_fma_f16 v19, v5, s17, v17
	v_add_f16_e32 v19, v19, v21
	v_mul_f16_e32 v21, 0x39e9, v7
	v_fma_f16 v17, v5, s17, -v17
	v_add_f16_e32 v34, v34, v35
	v_fma_f16 v35, v4, s16, v21
	v_add_f16_e32 v17, v17, v20
	v_fma_f16 v20, v4, s18, v21
	v_mul_f16_sdwa v21, v4, s26 dst_sel:DWORD dst_unused:UNUSED_PAD src0_sel:WORD_1 src1_sel:DWORD
	v_add_f16_e32 v20, v20, v22
	v_fma_f16 v22, v5, s27, v21
	v_add_f16_e32 v22, v22, v24
	v_mul_f16_e32 v24, 0xb8d2, v7
	v_fma_f16 v21, v5, s27, -v21
	v_fma_f16 v36, v4, s28, v24
	v_add_f16_e32 v21, v21, v23
	v_fma_f16 v23, v4, s26, v24
	v_mul_f16_sdwa v24, v4, s11 dst_sel:DWORD dst_unused:UNUSED_PAD src0_sel:WORD_1 src1_sel:DWORD
	v_add_f16_e32 v23, v23, v25
	v_fma_f16 v25, v5, s10, v24
	v_add_f16_e32 v25, v25, v29
	v_mul_f16_e32 v29, 0x3722, v7
	v_fma_f16 v24, v5, s10, -v24
	v_add_f16_e32 v35, v35, v37
	v_fma_f16 v37, v4, s5, v29
	v_add_f16_e32 v24, v24, v28
	v_fma_f16 v28, v4, s11, v29
	v_mul_f16_sdwa v29, v4, s20 dst_sel:DWORD dst_unused:UNUSED_PAD src0_sel:WORD_1 src1_sel:DWORD
	v_add_f16_e32 v28, v28, v30
	v_fma_f16 v30, v5, s24, v29
	v_add_f16_e32 v30, v30, v33
	v_mul_f16_e32 v33, 0xb461, v7
	v_fma_f16 v5, v5, s24, -v29
	v_add_f16_e32 v43, v43, v45
	v_add_f16_e32 v36, v36, v38
	v_fma_f16 v38, v4, s25, v33
	v_add_f16_e32 v5, v5, v18
	v_fma_f16 v18, v4, s20, v33
	v_pk_mul_f16 v4, v4, s14 op_sel_hi:[1,0]
	v_add_f16_e32 v44, v44, v46
	v_add_f16_e32 v41, v41, v43
	;; [unrolled: 1-line block ×3, first 2 shown]
	v_pk_fma_f16 v26, v7, s4, v4 op_sel_hi:[1,0,1]
	v_pk_fma_f16 v4, v7, s4, v4 op_sel_hi:[1,0,1] neg_lo:[0,0,1] neg_hi:[0,0,1]
	v_add_f16_e32 v42, v42, v44
	v_add_f16_e32 v39, v39, v41
	v_pk_add_f16 v4, v4, v6
	v_pack_b32_f16 v6, v13, v31
	v_pack_b32_f16 v7, v10, v27
	v_add_f16_e32 v40, v40, v42
	v_add_f16_e32 v37, v37, v39
	s_barrier
	ds_write2_b32 v1, v7, v6 offset0:1 offset1:2
	v_pack_b32_f16 v6, v19, v35
	v_pack_b32_f16 v7, v16, v34
	v_add_f16_e32 v38, v38, v40
	ds_write2_b32 v1, v7, v6 offset0:3 offset1:4
	v_pack_b32_f16 v6, v25, v37
	v_pack_b32_f16 v7, v22, v36
	v_pk_add_f16 v26, v26, v32
	ds_write2_b32 v1, v7, v6 offset0:5 offset1:6
	v_pack_b32_f16 v6, v30, v38
	ds_write2_b32 v1, v2, v6 offset1:7
	v_alignbit_b32 v2, v26, v4, 16
	v_alignbit_b32 v4, v4, v26, 16
	ds_write2_b32 v1, v4, v2 offset0:8 offset1:9
	v_pack_b32_f16 v2, v24, v28
	v_pack_b32_f16 v4, v5, v18
	ds_write2_b32 v1, v4, v2 offset0:10 offset1:11
	v_pack_b32_f16 v2, v17, v20
	v_pack_b32_f16 v4, v21, v23
	;; [unrolled: 3-line block ×3, first 2 shown]
	ds_write2_b32 v1, v4, v2 offset0:14 offset1:15
	v_pack_b32_f16 v2, v8, v9
	ds_write_b32 v1, v2 offset:64
	v_mul_u32_u24_e32 v1, 0x223, v0
	v_lshrrev_b32_e32 v1, 16, v1
	v_mul_lo_u16_e32 v2, 0x78, v1
	v_sub_u16_e32 v8, v0, v2
	v_mad_u64_u32 v[4:5], s[4:5], s12, v8, 0
	v_mov_b32_e32 v2, v5
	v_mad_u64_u32 v[6:7], s[4:5], s13, v8, v[2:3]
	s_lshl_b64 s[2:3], s[2:3], 2
	v_mov_b32_e32 v5, v6
	v_mul_lo_u16_e32 v6, 18, v8
	s_add_u32 s2, s6, s2
	v_mul_lo_u32 v2, s15, v1
	v_lshlrev_b32_e32 v10, 2, v6
	v_lshlrev_b32_e32 v1, 2, v1
	s_addc_u32 s3, s7, s3
	s_lshl_b64 s[0:1], s[0:1], 2
	v_add3_u32 v6, 0, v10, v1
	s_add_u32 s2, s2, s0
	s_waitcnt lgkmcnt(0)
	s_barrier
	ds_read2_b32 v[6:7], v6 offset1:1
	s_addc_u32 s3, s3, s1
	s_lshl_b64 s[0:1], s[8:9], 2
	s_add_u32 s0, s2, s0
	s_addc_u32 s1, s3, s1
	v_lshl_add_u64 v[4:5], v[4:5], 2, s[0:1]
	v_lshl_add_u64 v[8:9], v[2:3], 2, v[4:5]
	v_add_u32_e32 v2, s15, v2
	s_waitcnt lgkmcnt(0)
	global_store_dword v[8:9], v6, off
	v_add3_u32 v1, 0, v1, v10
	v_lshl_add_u64 v[8:9], v[2:3], 2, v[4:5]
	global_store_dword v[8:9], v7, off
	ds_read2_b32 v[6:7], v1 offset0:2 offset1:3
	v_add_u32_e32 v2, s15, v2
	v_lshl_add_u64 v[8:9], v[2:3], 2, v[4:5]
	ds_read2_b32 v[10:11], v1 offset0:4 offset1:5
	ds_read2_b32 v[12:13], v1 offset0:6 offset1:7
	;; [unrolled: 1-line block ×3, first 2 shown]
	v_add_u32_e32 v2, s15, v2
	s_waitcnt lgkmcnt(3)
	global_store_dword v[8:9], v6, off
	v_lshl_add_u64 v[8:9], v[2:3], 2, v[4:5]
	v_add_u32_e32 v2, s15, v2
	global_store_dword v[8:9], v7, off
	v_lshl_add_u64 v[6:7], v[2:3], 2, v[4:5]
	v_add_u32_e32 v2, s15, v2
	s_waitcnt lgkmcnt(2)
	global_store_dword v[6:7], v10, off
	v_lshl_add_u64 v[6:7], v[2:3], 2, v[4:5]
	v_add_u32_e32 v2, s15, v2
	global_store_dword v[6:7], v11, off
	v_lshl_add_u64 v[6:7], v[2:3], 2, v[4:5]
	;; [unrolled: 7-line block ×3, first 2 shown]
	v_add_u32_e32 v2, s15, v2
	s_waitcnt lgkmcnt(0)
	global_store_dword v[6:7], v14, off
	v_lshl_add_u64 v[6:7], v[2:3], 2, v[4:5]
	global_store_dword v[6:7], v15, off
	ds_read2_b32 v[6:7], v1 offset0:10 offset1:11
	v_add_u32_e32 v2, s15, v2
	v_lshl_add_u64 v[8:9], v[2:3], 2, v[4:5]
	ds_read2_b32 v[10:11], v1 offset0:12 offset1:13
	ds_read2_b32 v[12:13], v1 offset0:14 offset1:15
	ds_read_b32 v14, v1 offset:64
	v_add_u32_e32 v2, s15, v2
	s_waitcnt lgkmcnt(3)
	global_store_dword v[8:9], v6, off
	v_lshl_add_u64 v[8:9], v[2:3], 2, v[4:5]
	v_add_u32_e32 v2, s15, v2
	global_store_dword v[8:9], v7, off
	v_lshl_add_u64 v[6:7], v[2:3], 2, v[4:5]
	v_add_u32_e32 v2, s15, v2
	s_waitcnt lgkmcnt(2)
	global_store_dword v[6:7], v10, off
	v_lshl_add_u64 v[6:7], v[2:3], 2, v[4:5]
	v_add_u32_e32 v2, s15, v2
	global_store_dword v[6:7], v11, off
	v_lshl_add_u64 v[6:7], v[2:3], 2, v[4:5]
	;; [unrolled: 7-line block ×3, first 2 shown]
	v_cmp_gt_u32_e32 vcc, s19, v0
	s_waitcnt lgkmcnt(0)
	global_store_dword v[6:7], v14, off
	s_and_saveexec_b64 s[0:1], vcc
	s_cbranch_execz .LBB0_2
; %bb.1:
	ds_read_b32 v6, v1 offset:68
	v_add_u32_e32 v2, s15, v2
	v_lshl_add_u64 v[0:1], v[2:3], 2, v[4:5]
	s_waitcnt lgkmcnt(0)
	global_store_dword v[0:1], v6, off
.LBB0_2:
	s_endpgm
	.section	.rodata,"a",@progbits
	.p2align	6, 0x0
	.amdhsa_kernel fft_rtc_back_len17_factors_17_wgs_120_tpt_1_half_op_CI_CI_sbrc_erc_z_xy_aligned
		.amdhsa_group_segment_fixed_size 0
		.amdhsa_private_segment_fixed_size 0
		.amdhsa_kernarg_size 104
		.amdhsa_user_sgpr_count 2
		.amdhsa_user_sgpr_dispatch_ptr 0
		.amdhsa_user_sgpr_queue_ptr 0
		.amdhsa_user_sgpr_kernarg_segment_ptr 1
		.amdhsa_user_sgpr_dispatch_id 0
		.amdhsa_user_sgpr_kernarg_preload_length 0
		.amdhsa_user_sgpr_kernarg_preload_offset 0
		.amdhsa_user_sgpr_private_segment_size 0
		.amdhsa_uses_dynamic_stack 0
		.amdhsa_enable_private_segment 0
		.amdhsa_system_sgpr_workgroup_id_x 1
		.amdhsa_system_sgpr_workgroup_id_y 0
		.amdhsa_system_sgpr_workgroup_id_z 0
		.amdhsa_system_sgpr_workgroup_info 0
		.amdhsa_system_vgpr_workitem_id 0
		.amdhsa_next_free_vgpr 59
		.amdhsa_next_free_sgpr 37
		.amdhsa_accum_offset 60
		.amdhsa_reserve_vcc 1
		.amdhsa_float_round_mode_32 0
		.amdhsa_float_round_mode_16_64 0
		.amdhsa_float_denorm_mode_32 3
		.amdhsa_float_denorm_mode_16_64 3
		.amdhsa_dx10_clamp 1
		.amdhsa_ieee_mode 1
		.amdhsa_fp16_overflow 0
		.amdhsa_tg_split 0
		.amdhsa_exception_fp_ieee_invalid_op 0
		.amdhsa_exception_fp_denorm_src 0
		.amdhsa_exception_fp_ieee_div_zero 0
		.amdhsa_exception_fp_ieee_overflow 0
		.amdhsa_exception_fp_ieee_underflow 0
		.amdhsa_exception_fp_ieee_inexact 0
		.amdhsa_exception_int_div_zero 0
	.end_amdhsa_kernel
	.text
.Lfunc_end0:
	.size	fft_rtc_back_len17_factors_17_wgs_120_tpt_1_half_op_CI_CI_sbrc_erc_z_xy_aligned, .Lfunc_end0-fft_rtc_back_len17_factors_17_wgs_120_tpt_1_half_op_CI_CI_sbrc_erc_z_xy_aligned
                                        ; -- End function
	.section	.AMDGPU.csdata,"",@progbits
; Kernel info:
; codeLenInByte = 8040
; NumSgprs: 43
; NumVgprs: 59
; NumAgprs: 0
; TotalNumVgprs: 59
; ScratchSize: 0
; MemoryBound: 0
; FloatMode: 240
; IeeeMode: 1
; LDSByteSize: 0 bytes/workgroup (compile time only)
; SGPRBlocks: 5
; VGPRBlocks: 7
; NumSGPRsForWavesPerEU: 43
; NumVGPRsForWavesPerEU: 59
; AccumOffset: 60
; Occupancy: 8
; WaveLimiterHint : 1
; COMPUTE_PGM_RSRC2:SCRATCH_EN: 0
; COMPUTE_PGM_RSRC2:USER_SGPR: 2
; COMPUTE_PGM_RSRC2:TRAP_HANDLER: 0
; COMPUTE_PGM_RSRC2:TGID_X_EN: 1
; COMPUTE_PGM_RSRC2:TGID_Y_EN: 0
; COMPUTE_PGM_RSRC2:TGID_Z_EN: 0
; COMPUTE_PGM_RSRC2:TIDIG_COMP_CNT: 0
; COMPUTE_PGM_RSRC3_GFX90A:ACCUM_OFFSET: 14
; COMPUTE_PGM_RSRC3_GFX90A:TG_SPLIT: 0
	.text
	.p2alignl 6, 3212836864
	.fill 256, 4, 3212836864
	.type	__hip_cuid_3543ab5a70d6c1e8,@object ; @__hip_cuid_3543ab5a70d6c1e8
	.section	.bss,"aw",@nobits
	.globl	__hip_cuid_3543ab5a70d6c1e8
__hip_cuid_3543ab5a70d6c1e8:
	.byte	0                               ; 0x0
	.size	__hip_cuid_3543ab5a70d6c1e8, 1

	.ident	"AMD clang version 19.0.0git (https://github.com/RadeonOpenCompute/llvm-project roc-6.4.0 25133 c7fe45cf4b819c5991fe208aaa96edf142730f1d)"
	.section	".note.GNU-stack","",@progbits
	.addrsig
	.addrsig_sym __hip_cuid_3543ab5a70d6c1e8
	.amdgpu_metadata
---
amdhsa.kernels:
  - .agpr_count:     0
    .args:
      - .actual_access:  read_only
        .address_space:  global
        .offset:         0
        .size:           8
        .value_kind:     global_buffer
      - .offset:         8
        .size:           8
        .value_kind:     by_value
      - .actual_access:  read_only
        .address_space:  global
        .offset:         16
        .size:           8
        .value_kind:     global_buffer
      - .actual_access:  read_only
        .address_space:  global
        .offset:         24
        .size:           8
        .value_kind:     global_buffer
      - .actual_access:  read_only
        .address_space:  global
        .offset:         32
        .size:           8
        .value_kind:     global_buffer
      - .offset:         40
        .size:           8
        .value_kind:     by_value
      - .actual_access:  read_only
        .address_space:  global
        .offset:         48
        .size:           8
        .value_kind:     global_buffer
      - .actual_access:  read_only
        .address_space:  global
        .offset:         56
        .size:           8
        .value_kind:     global_buffer
      - .offset:         64
        .size:           4
        .value_kind:     by_value
      - .actual_access:  read_only
        .address_space:  global
        .offset:         72
        .size:           8
        .value_kind:     global_buffer
      - .actual_access:  read_only
        .address_space:  global
        .offset:         80
        .size:           8
        .value_kind:     global_buffer
      - .actual_access:  read_only
        .address_space:  global
        .offset:         88
        .size:           8
        .value_kind:     global_buffer
      - .actual_access:  write_only
        .address_space:  global
        .offset:         96
        .size:           8
        .value_kind:     global_buffer
    .group_segment_fixed_size: 0
    .kernarg_segment_align: 8
    .kernarg_segment_size: 104
    .language:       OpenCL C
    .language_version:
      - 2
      - 0
    .max_flat_workgroup_size: 120
    .name:           fft_rtc_back_len17_factors_17_wgs_120_tpt_1_half_op_CI_CI_sbrc_erc_z_xy_aligned
    .private_segment_fixed_size: 0
    .sgpr_count:     43
    .sgpr_spill_count: 0
    .symbol:         fft_rtc_back_len17_factors_17_wgs_120_tpt_1_half_op_CI_CI_sbrc_erc_z_xy_aligned.kd
    .uniform_work_group_size: 1
    .uses_dynamic_stack: false
    .vgpr_count:     59
    .vgpr_spill_count: 0
    .wavefront_size: 64
amdhsa.target:   amdgcn-amd-amdhsa--gfx950
amdhsa.version:
  - 1
  - 2
...

	.end_amdgpu_metadata
